;; amdgpu-corpus repo=LLNL/RAJAPerf kind=compiled arch=gfx906 opt=O3
	.amdgcn_target "amdgcn-amd-amdhsa--gfx906"
	.amdhsa_code_object_version 6
	.section	.text._ZN8rajaperf9polybench9poly_gemmILm32ELm8EEEvPdS2_S2_ddlll,"axG",@progbits,_ZN8rajaperf9polybench9poly_gemmILm32ELm8EEEvPdS2_S2_ddlll,comdat
	.protected	_ZN8rajaperf9polybench9poly_gemmILm32ELm8EEEvPdS2_S2_ddlll ; -- Begin function _ZN8rajaperf9polybench9poly_gemmILm32ELm8EEEvPdS2_S2_ddlll
	.globl	_ZN8rajaperf9polybench9poly_gemmILm32ELm8EEEvPdS2_S2_ddlll
	.p2align	8
	.type	_ZN8rajaperf9polybench9poly_gemmILm32ELm8EEEvPdS2_S2_ddlll,@function
_ZN8rajaperf9polybench9poly_gemmILm32ELm8EEEvPdS2_S2_ddlll: ; @_ZN8rajaperf9polybench9poly_gemmILm32ELm8EEEvPdS2_S2_ddlll
; %bb.0:
	s_load_dword s0, s[4:5], 0x4c
	s_load_dwordx16 s[8:23], s[4:5], 0x0
	v_mov_b32_e32 v3, 0
	s_waitcnt lgkmcnt(0)
	s_lshr_b32 s1, s0, 16
	s_and_b32 s0, s0, 0xffff
	s_mul_i32 s7, s7, s1
	s_mul_i32 s6, s6, s0
	v_add_u32_e32 v2, s7, v1
	v_add_u32_e32 v0, s6, v0
	v_mov_b32_e32 v1, v3
	v_cmp_gt_i64_e32 vcc, s[18:19], v[2:3]
	v_cmp_gt_i64_e64 s[0:1], s[20:21], v[0:1]
	s_and_b64 s[0:1], vcc, s[0:1]
	s_and_saveexec_b64 s[2:3], s[0:1]
	s_cbranch_execz .LBB0_6
; %bb.1:
	v_mad_u64_u32 v[5:6], s[0:1], s20, v2, 0
	v_mov_b32_e32 v3, v6
	v_mad_u64_u32 v[6:7], s[0:1], s21, v2, v[3:4]
	v_lshlrev_b64 v[3:4], 3, v[0:1]
	v_mov_b32_e32 v7, s9
	v_lshlrev_b64 v[0:1], 3, v[5:6]
	v_cmp_lt_i64_e64 s[0:1], s[22:23], 1
	v_add_co_u32_e32 v0, vcc, s8, v0
	v_addc_co_u32_e32 v1, vcc, v7, v1, vcc
	v_add_co_u32_e32 v0, vcc, v0, v3
	v_addc_co_u32_e32 v1, vcc, v1, v4, vcc
	global_load_dwordx2 v[5:6], v[0:1], off
	s_and_b64 vcc, exec, s[0:1]
	s_waitcnt vmcnt(0)
	v_mul_f64 v[5:6], s[16:17], v[5:6]
	global_store_dwordx2 v[0:1], v[5:6], off
	s_cbranch_vccnz .LBB0_4
; %bb.2:
	v_mad_u64_u32 v[5:6], s[0:1], s22, v2, 0
	v_mov_b32_e32 v8, s13
	v_mad_u64_u32 v[6:7], s[0:1], s23, v2, v[6:7]
	v_add_co_u32_e32 v2, vcc, s12, v3
	v_addc_co_u32_e32 v3, vcc, v8, v4, vcc
	v_lshlrev_b64 v[4:5], 3, v[5:6]
	v_mov_b32_e32 v7, s11
	v_add_co_u32_e32 v6, vcc, s10, v4
	v_addc_co_u32_e32 v7, vcc, v7, v5, vcc
	v_mov_b32_e32 v4, 0
	v_mov_b32_e32 v5, 0
	s_lshl_b64 s[0:1], s[20:21], 3
.LBB0_3:                                ; =>This Inner Loop Header: Depth=1
	global_load_dwordx2 v[8:9], v[6:7], off
	global_load_dwordx2 v[10:11], v[2:3], off
	v_add_co_u32_e32 v6, vcc, 8, v6
	v_addc_co_u32_e32 v7, vcc, 0, v7, vcc
	s_add_u32 s22, s22, -1
	v_add_co_u32_e32 v2, vcc, s0, v2
	s_addc_u32 s23, s23, -1
	s_cmp_eq_u64 s[22:23], 0
	s_waitcnt vmcnt(1)
	v_mul_f64 v[8:9], s[14:15], v[8:9]
	s_waitcnt vmcnt(0)
	v_fma_f64 v[4:5], v[8:9], v[10:11], v[4:5]
	v_mov_b32_e32 v8, s1
	v_addc_co_u32_e32 v3, vcc, v3, v8, vcc
	s_cbranch_scc0 .LBB0_3
	s_branch .LBB0_5
.LBB0_4:
	v_mov_b32_e32 v4, 0
	v_mov_b32_e32 v5, 0
.LBB0_5:
	global_store_dwordx2 v[0:1], v[4:5], off
.LBB0_6:
	s_endpgm
	.section	.rodata,"a",@progbits
	.p2align	6, 0x0
	.amdhsa_kernel _ZN8rajaperf9polybench9poly_gemmILm32ELm8EEEvPdS2_S2_ddlll
		.amdhsa_group_segment_fixed_size 0
		.amdhsa_private_segment_fixed_size 0
		.amdhsa_kernarg_size 320
		.amdhsa_user_sgpr_count 6
		.amdhsa_user_sgpr_private_segment_buffer 1
		.amdhsa_user_sgpr_dispatch_ptr 0
		.amdhsa_user_sgpr_queue_ptr 0
		.amdhsa_user_sgpr_kernarg_segment_ptr 1
		.amdhsa_user_sgpr_dispatch_id 0
		.amdhsa_user_sgpr_flat_scratch_init 0
		.amdhsa_user_sgpr_private_segment_size 0
		.amdhsa_uses_dynamic_stack 0
		.amdhsa_system_sgpr_private_segment_wavefront_offset 0
		.amdhsa_system_sgpr_workgroup_id_x 1
		.amdhsa_system_sgpr_workgroup_id_y 1
		.amdhsa_system_sgpr_workgroup_id_z 0
		.amdhsa_system_sgpr_workgroup_info 0
		.amdhsa_system_vgpr_workitem_id 1
		.amdhsa_next_free_vgpr 12
		.amdhsa_next_free_sgpr 24
		.amdhsa_reserve_vcc 1
		.amdhsa_reserve_flat_scratch 0
		.amdhsa_float_round_mode_32 0
		.amdhsa_float_round_mode_16_64 0
		.amdhsa_float_denorm_mode_32 3
		.amdhsa_float_denorm_mode_16_64 3
		.amdhsa_dx10_clamp 1
		.amdhsa_ieee_mode 1
		.amdhsa_fp16_overflow 0
		.amdhsa_exception_fp_ieee_invalid_op 0
		.amdhsa_exception_fp_denorm_src 0
		.amdhsa_exception_fp_ieee_div_zero 0
		.amdhsa_exception_fp_ieee_overflow 0
		.amdhsa_exception_fp_ieee_underflow 0
		.amdhsa_exception_fp_ieee_inexact 0
		.amdhsa_exception_int_div_zero 0
	.end_amdhsa_kernel
	.section	.text._ZN8rajaperf9polybench9poly_gemmILm32ELm8EEEvPdS2_S2_ddlll,"axG",@progbits,_ZN8rajaperf9polybench9poly_gemmILm32ELm8EEEvPdS2_S2_ddlll,comdat
.Lfunc_end0:
	.size	_ZN8rajaperf9polybench9poly_gemmILm32ELm8EEEvPdS2_S2_ddlll, .Lfunc_end0-_ZN8rajaperf9polybench9poly_gemmILm32ELm8EEEvPdS2_S2_ddlll
                                        ; -- End function
	.set _ZN8rajaperf9polybench9poly_gemmILm32ELm8EEEvPdS2_S2_ddlll.num_vgpr, 12
	.set _ZN8rajaperf9polybench9poly_gemmILm32ELm8EEEvPdS2_S2_ddlll.num_agpr, 0
	.set _ZN8rajaperf9polybench9poly_gemmILm32ELm8EEEvPdS2_S2_ddlll.numbered_sgpr, 24
	.set _ZN8rajaperf9polybench9poly_gemmILm32ELm8EEEvPdS2_S2_ddlll.num_named_barrier, 0
	.set _ZN8rajaperf9polybench9poly_gemmILm32ELm8EEEvPdS2_S2_ddlll.private_seg_size, 0
	.set _ZN8rajaperf9polybench9poly_gemmILm32ELm8EEEvPdS2_S2_ddlll.uses_vcc, 1
	.set _ZN8rajaperf9polybench9poly_gemmILm32ELm8EEEvPdS2_S2_ddlll.uses_flat_scratch, 0
	.set _ZN8rajaperf9polybench9poly_gemmILm32ELm8EEEvPdS2_S2_ddlll.has_dyn_sized_stack, 0
	.set _ZN8rajaperf9polybench9poly_gemmILm32ELm8EEEvPdS2_S2_ddlll.has_recursion, 0
	.set _ZN8rajaperf9polybench9poly_gemmILm32ELm8EEEvPdS2_S2_ddlll.has_indirect_call, 0
	.section	.AMDGPU.csdata,"",@progbits
; Kernel info:
; codeLenInByte = 340
; TotalNumSgprs: 28
; NumVgprs: 12
; ScratchSize: 0
; MemoryBound: 0
; FloatMode: 240
; IeeeMode: 1
; LDSByteSize: 0 bytes/workgroup (compile time only)
; SGPRBlocks: 3
; VGPRBlocks: 2
; NumSGPRsForWavesPerEU: 28
; NumVGPRsForWavesPerEU: 12
; Occupancy: 10
; WaveLimiterHint : 0
; COMPUTE_PGM_RSRC2:SCRATCH_EN: 0
; COMPUTE_PGM_RSRC2:USER_SGPR: 6
; COMPUTE_PGM_RSRC2:TRAP_HANDLER: 0
; COMPUTE_PGM_RSRC2:TGID_X_EN: 1
; COMPUTE_PGM_RSRC2:TGID_Y_EN: 1
; COMPUTE_PGM_RSRC2:TGID_Z_EN: 0
; COMPUTE_PGM_RSRC2:TIDIG_COMP_CNT: 1
	.section	.text._ZN8rajaperf9polybench13poly_gemm_lamILm32ELm8EZNS0_14POLYBENCH_GEMM17runHipVariantImplILm256EEEvNS_9VariantIDEEUlllE_EEvllT1_,"axG",@progbits,_ZN8rajaperf9polybench13poly_gemm_lamILm32ELm8EZNS0_14POLYBENCH_GEMM17runHipVariantImplILm256EEEvNS_9VariantIDEEUlllE_EEvllT1_,comdat
	.protected	_ZN8rajaperf9polybench13poly_gemm_lamILm32ELm8EZNS0_14POLYBENCH_GEMM17runHipVariantImplILm256EEEvNS_9VariantIDEEUlllE_EEvllT1_ ; -- Begin function _ZN8rajaperf9polybench13poly_gemm_lamILm32ELm8EZNS0_14POLYBENCH_GEMM17runHipVariantImplILm256EEEvNS_9VariantIDEEUlllE_EEvllT1_
	.globl	_ZN8rajaperf9polybench13poly_gemm_lamILm32ELm8EZNS0_14POLYBENCH_GEMM17runHipVariantImplILm256EEEvNS_9VariantIDEEUlllE_EEvllT1_
	.p2align	8
	.type	_ZN8rajaperf9polybench13poly_gemm_lamILm32ELm8EZNS0_14POLYBENCH_GEMM17runHipVariantImplILm256EEEvNS_9VariantIDEEUlllE_EEvllT1_,@function
_ZN8rajaperf9polybench13poly_gemm_lamILm32ELm8EZNS0_14POLYBENCH_GEMM17runHipVariantImplILm256EEEvNS_9VariantIDEEUlllE_EEvllT1_: ; @_ZN8rajaperf9polybench13poly_gemm_lamILm32ELm8EZNS0_14POLYBENCH_GEMM17runHipVariantImplILm256EEEvNS_9VariantIDEEUlllE_EEvllT1_
; %bb.0:
	s_load_dword s8, s[4:5], 0x54
	s_load_dwordx4 s[0:3], s[4:5], 0x0
	v_mov_b32_e32 v3, 0
	s_waitcnt lgkmcnt(0)
	s_lshr_b32 s9, s8, 16
	s_mul_i32 s7, s7, s9
	v_add_u32_e32 v2, s7, v1
	s_and_b32 s7, s8, 0xffff
	s_mul_i32 s6, s6, s7
	v_add_u32_e32 v0, s6, v0
	v_mov_b32_e32 v1, v3
	v_cmp_gt_i64_e32 vcc, s[0:1], v[2:3]
	v_cmp_gt_i64_e64 s[0:1], s[2:3], v[0:1]
	s_and_b64 s[0:1], vcc, s[0:1]
	s_and_saveexec_b64 s[2:3], s[0:1]
	s_cbranch_execz .LBB1_6
; %bb.1:
	s_load_dwordx4 s[0:3], s[4:5], 0x10
	s_load_dwordx2 s[6:7], s[4:5], 0x20
	v_lshlrev_b64 v[6:7], 3, v[0:1]
	s_waitcnt lgkmcnt(0)
	v_mad_u64_u32 v[3:4], s[8:9], s2, v2, 0
	v_mov_b32_e32 v5, s1
	v_add_co_u32_e32 v8, vcc, s0, v6
	v_mov_b32_e32 v0, v4
	v_mad_u64_u32 v[0:1], s[8:9], s3, v2, v[0:1]
	v_addc_co_u32_e32 v5, vcc, v5, v7, vcc
	v_mov_b32_e32 v4, v0
	v_lshlrev_b64 v[0:1], 3, v[3:4]
	s_load_dwordx8 s[8:15], s[4:5], 0x28
	v_add_co_u32_e32 v0, vcc, v8, v0
	v_addc_co_u32_e32 v1, vcc, v5, v1, vcc
	global_load_dwordx2 v[3:4], v[0:1], off
	s_waitcnt lgkmcnt(0)
	v_cmp_lt_i64_e64 s[0:1], s[8:9], 1
	s_and_b64 vcc, exec, s[0:1]
	s_waitcnt vmcnt(0)
	v_mul_f64 v[3:4], s[6:7], v[3:4]
	global_store_dwordx2 v[0:1], v[3:4], off
	s_cbranch_vccnz .LBB1_4
; %bb.2:
	v_mad_u64_u32 v[3:4], s[0:1], s8, v2, 0
	v_mov_b32_e32 v8, s15
	v_mad_u64_u32 v[4:5], s[0:1], s9, v2, v[4:5]
	v_mov_b32_e32 v5, s13
	s_lshl_b64 s[0:1], s[2:3], 3
	v_lshlrev_b64 v[2:3], 3, v[3:4]
	v_add_co_u32_e32 v4, vcc, s12, v2
	v_addc_co_u32_e32 v5, vcc, v5, v3, vcc
	v_add_co_u32_e32 v6, vcc, s14, v6
	v_mov_b32_e32 v2, 0
	v_addc_co_u32_e32 v7, vcc, v8, v7, vcc
	v_mov_b32_e32 v3, 0
.LBB1_3:                                ; =>This Inner Loop Header: Depth=1
	global_load_dwordx2 v[8:9], v[4:5], off
	global_load_dwordx2 v[10:11], v[6:7], off
	v_add_co_u32_e32 v4, vcc, 8, v4
	v_addc_co_u32_e32 v5, vcc, 0, v5, vcc
	s_add_u32 s8, s8, -1
	v_add_co_u32_e32 v6, vcc, s0, v6
	s_addc_u32 s9, s9, -1
	s_cmp_lg_u64 s[8:9], 0
	s_waitcnt vmcnt(1)
	v_mul_f64 v[8:9], s[10:11], v[8:9]
	s_waitcnt vmcnt(0)
	v_fma_f64 v[2:3], v[8:9], v[10:11], v[2:3]
	v_mov_b32_e32 v8, s1
	v_addc_co_u32_e32 v7, vcc, v7, v8, vcc
	s_cbranch_scc1 .LBB1_3
	s_branch .LBB1_5
.LBB1_4:
	v_mov_b32_e32 v2, 0
	v_mov_b32_e32 v3, 0
.LBB1_5:
	global_store_dwordx2 v[0:1], v[2:3], off
.LBB1_6:
	s_endpgm
	.section	.rodata,"a",@progbits
	.p2align	6, 0x0
	.amdhsa_kernel _ZN8rajaperf9polybench13poly_gemm_lamILm32ELm8EZNS0_14POLYBENCH_GEMM17runHipVariantImplILm256EEEvNS_9VariantIDEEUlllE_EEvllT1_
		.amdhsa_group_segment_fixed_size 0
		.amdhsa_private_segment_fixed_size 0
		.amdhsa_kernarg_size 328
		.amdhsa_user_sgpr_count 6
		.amdhsa_user_sgpr_private_segment_buffer 1
		.amdhsa_user_sgpr_dispatch_ptr 0
		.amdhsa_user_sgpr_queue_ptr 0
		.amdhsa_user_sgpr_kernarg_segment_ptr 1
		.amdhsa_user_sgpr_dispatch_id 0
		.amdhsa_user_sgpr_flat_scratch_init 0
		.amdhsa_user_sgpr_private_segment_size 0
		.amdhsa_uses_dynamic_stack 0
		.amdhsa_system_sgpr_private_segment_wavefront_offset 0
		.amdhsa_system_sgpr_workgroup_id_x 1
		.amdhsa_system_sgpr_workgroup_id_y 1
		.amdhsa_system_sgpr_workgroup_id_z 0
		.amdhsa_system_sgpr_workgroup_info 0
		.amdhsa_system_vgpr_workitem_id 1
		.amdhsa_next_free_vgpr 12
		.amdhsa_next_free_sgpr 16
		.amdhsa_reserve_vcc 1
		.amdhsa_reserve_flat_scratch 0
		.amdhsa_float_round_mode_32 0
		.amdhsa_float_round_mode_16_64 0
		.amdhsa_float_denorm_mode_32 3
		.amdhsa_float_denorm_mode_16_64 3
		.amdhsa_dx10_clamp 1
		.amdhsa_ieee_mode 1
		.amdhsa_fp16_overflow 0
		.amdhsa_exception_fp_ieee_invalid_op 0
		.amdhsa_exception_fp_denorm_src 0
		.amdhsa_exception_fp_ieee_div_zero 0
		.amdhsa_exception_fp_ieee_overflow 0
		.amdhsa_exception_fp_ieee_underflow 0
		.amdhsa_exception_fp_ieee_inexact 0
		.amdhsa_exception_int_div_zero 0
	.end_amdhsa_kernel
	.section	.text._ZN8rajaperf9polybench13poly_gemm_lamILm32ELm8EZNS0_14POLYBENCH_GEMM17runHipVariantImplILm256EEEvNS_9VariantIDEEUlllE_EEvllT1_,"axG",@progbits,_ZN8rajaperf9polybench13poly_gemm_lamILm32ELm8EZNS0_14POLYBENCH_GEMM17runHipVariantImplILm256EEEvNS_9VariantIDEEUlllE_EEvllT1_,comdat
.Lfunc_end1:
	.size	_ZN8rajaperf9polybench13poly_gemm_lamILm32ELm8EZNS0_14POLYBENCH_GEMM17runHipVariantImplILm256EEEvNS_9VariantIDEEUlllE_EEvllT1_, .Lfunc_end1-_ZN8rajaperf9polybench13poly_gemm_lamILm32ELm8EZNS0_14POLYBENCH_GEMM17runHipVariantImplILm256EEEvNS_9VariantIDEEUlllE_EEvllT1_
                                        ; -- End function
	.set _ZN8rajaperf9polybench13poly_gemm_lamILm32ELm8EZNS0_14POLYBENCH_GEMM17runHipVariantImplILm256EEEvNS_9VariantIDEEUlllE_EEvllT1_.num_vgpr, 12
	.set _ZN8rajaperf9polybench13poly_gemm_lamILm32ELm8EZNS0_14POLYBENCH_GEMM17runHipVariantImplILm256EEEvNS_9VariantIDEEUlllE_EEvllT1_.num_agpr, 0
	.set _ZN8rajaperf9polybench13poly_gemm_lamILm32ELm8EZNS0_14POLYBENCH_GEMM17runHipVariantImplILm256EEEvNS_9VariantIDEEUlllE_EEvllT1_.numbered_sgpr, 16
	.set _ZN8rajaperf9polybench13poly_gemm_lamILm32ELm8EZNS0_14POLYBENCH_GEMM17runHipVariantImplILm256EEEvNS_9VariantIDEEUlllE_EEvllT1_.num_named_barrier, 0
	.set _ZN8rajaperf9polybench13poly_gemm_lamILm32ELm8EZNS0_14POLYBENCH_GEMM17runHipVariantImplILm256EEEvNS_9VariantIDEEUlllE_EEvllT1_.private_seg_size, 0
	.set _ZN8rajaperf9polybench13poly_gemm_lamILm32ELm8EZNS0_14POLYBENCH_GEMM17runHipVariantImplILm256EEEvNS_9VariantIDEEUlllE_EEvllT1_.uses_vcc, 1
	.set _ZN8rajaperf9polybench13poly_gemm_lamILm32ELm8EZNS0_14POLYBENCH_GEMM17runHipVariantImplILm256EEEvNS_9VariantIDEEUlllE_EEvllT1_.uses_flat_scratch, 0
	.set _ZN8rajaperf9polybench13poly_gemm_lamILm32ELm8EZNS0_14POLYBENCH_GEMM17runHipVariantImplILm256EEEvNS_9VariantIDEEUlllE_EEvllT1_.has_dyn_sized_stack, 0
	.set _ZN8rajaperf9polybench13poly_gemm_lamILm32ELm8EZNS0_14POLYBENCH_GEMM17runHipVariantImplILm256EEEvNS_9VariantIDEEUlllE_EEvllT1_.has_recursion, 0
	.set _ZN8rajaperf9polybench13poly_gemm_lamILm32ELm8EZNS0_14POLYBENCH_GEMM17runHipVariantImplILm256EEEvNS_9VariantIDEEUlllE_EEvllT1_.has_indirect_call, 0
	.section	.AMDGPU.csdata,"",@progbits
; Kernel info:
; codeLenInByte = 376
; TotalNumSgprs: 20
; NumVgprs: 12
; ScratchSize: 0
; MemoryBound: 0
; FloatMode: 240
; IeeeMode: 1
; LDSByteSize: 0 bytes/workgroup (compile time only)
; SGPRBlocks: 2
; VGPRBlocks: 2
; NumSGPRsForWavesPerEU: 20
; NumVGPRsForWavesPerEU: 12
; Occupancy: 10
; WaveLimiterHint : 0
; COMPUTE_PGM_RSRC2:SCRATCH_EN: 0
; COMPUTE_PGM_RSRC2:USER_SGPR: 6
; COMPUTE_PGM_RSRC2:TRAP_HANDLER: 0
; COMPUTE_PGM_RSRC2:TGID_X_EN: 1
; COMPUTE_PGM_RSRC2:TGID_Y_EN: 1
; COMPUTE_PGM_RSRC2:TGID_Z_EN: 0
; COMPUTE_PGM_RSRC2:TIDIG_COMP_CNT: 1
	.section	.text._ZN4RAJA8internal22HipKernelLauncherFixedILi256ENS0_8LoopDataIN4camp5tupleIJNS_4SpanINS_9Iterators16numeric_iteratorIllPlEElEESA_SA_EEENS4_IJdEEENS3_9resources2v13HipEJZN8rajaperf9polybench14POLYBENCH_GEMM17runHipVariantImplILm256EEEvNSG_9VariantIDEEUlRdE_ZNSJ_ILm256EEEvSK_EUlllE0_ZNSJ_ILm256EEEvSK_EUllllSL_E_ZNSJ_ILm256EEEvSK_EUlllSL_E_EEENS0_24HipStatementListExecutorISQ_NS3_4listIJNS_9statement3ForILl0ENS_6policy3hip11hip_indexerINS_17iteration_mapping6DirectELNS_23kernel_sync_requirementE0EJNS_3hip11IndexGlobalILNS_9named_dimE1ELi8ELi0EEEEEEJNSU_ILl1ENSX_ISZ_LS10_0EJNS12_ILS13_0ELi32ELi0EEEEEEJNST_6LambdaILl0EJNSS_IJNS0_9LambdaArgINS0_18lambda_arg_param_tELl0EEEEEEEEENS18_ILl1EJNSS_IJNS19_INS0_16lambda_arg_seg_tELl0EEENS19_IS1E_Ll1EEEEEEEEENSU_ILl2ENSV_10sequential8seq_execEJNS18_ILl2EJNSS_IJS1F_S1G_NS19_IS1E_Ll2EEEEEES1C_EEEEEENS18_ILl3EJS1H_S1C_EEEEEEEEEEEENS0_9LoopTypesINSS_IJvvvEEES1U_EEEEEEvT0_,"axG",@progbits,_ZN4RAJA8internal22HipKernelLauncherFixedILi256ENS0_8LoopDataIN4camp5tupleIJNS_4SpanINS_9Iterators16numeric_iteratorIllPlEElEESA_SA_EEENS4_IJdEEENS3_9resources2v13HipEJZN8rajaperf9polybench14POLYBENCH_GEMM17runHipVariantImplILm256EEEvNSG_9VariantIDEEUlRdE_ZNSJ_ILm256EEEvSK_EUlllE0_ZNSJ_ILm256EEEvSK_EUllllSL_E_ZNSJ_ILm256EEEvSK_EUlllSL_E_EEENS0_24HipStatementListExecutorISQ_NS3_4listIJNS_9statement3ForILl0ENS_6policy3hip11hip_indexerINS_17iteration_mapping6DirectELNS_23kernel_sync_requirementE0EJNS_3hip11IndexGlobalILNS_9named_dimE1ELi8ELi0EEEEEEJNSU_ILl1ENSX_ISZ_LS10_0EJNS12_ILS13_0ELi32ELi0EEEEEEJNST_6LambdaILl0EJNSS_IJNS0_9LambdaArgINS0_18lambda_arg_param_tELl0EEEEEEEEENS18_ILl1EJNSS_IJNS19_INS0_16lambda_arg_seg_tELl0EEENS19_IS1E_Ll1EEEEEEEEENSU_ILl2ENSV_10sequential8seq_execEJNS18_ILl2EJNSS_IJS1F_S1G_NS19_IS1E_Ll2EEEEEES1C_EEEEEENS18_ILl3EJS1H_S1C_EEEEEEEEEEEENS0_9LoopTypesINSS_IJvvvEEES1U_EEEEEEvT0_,comdat
	.protected	_ZN4RAJA8internal22HipKernelLauncherFixedILi256ENS0_8LoopDataIN4camp5tupleIJNS_4SpanINS_9Iterators16numeric_iteratorIllPlEElEESA_SA_EEENS4_IJdEEENS3_9resources2v13HipEJZN8rajaperf9polybench14POLYBENCH_GEMM17runHipVariantImplILm256EEEvNSG_9VariantIDEEUlRdE_ZNSJ_ILm256EEEvSK_EUlllE0_ZNSJ_ILm256EEEvSK_EUllllSL_E_ZNSJ_ILm256EEEvSK_EUlllSL_E_EEENS0_24HipStatementListExecutorISQ_NS3_4listIJNS_9statement3ForILl0ENS_6policy3hip11hip_indexerINS_17iteration_mapping6DirectELNS_23kernel_sync_requirementE0EJNS_3hip11IndexGlobalILNS_9named_dimE1ELi8ELi0EEEEEEJNSU_ILl1ENSX_ISZ_LS10_0EJNS12_ILS13_0ELi32ELi0EEEEEEJNST_6LambdaILl0EJNSS_IJNS0_9LambdaArgINS0_18lambda_arg_param_tELl0EEEEEEEEENS18_ILl1EJNSS_IJNS19_INS0_16lambda_arg_seg_tELl0EEENS19_IS1E_Ll1EEEEEEEEENSU_ILl2ENSV_10sequential8seq_execEJNS18_ILl2EJNSS_IJS1F_S1G_NS19_IS1E_Ll2EEEEEES1C_EEEEEENS18_ILl3EJS1H_S1C_EEEEEEEEEEEENS0_9LoopTypesINSS_IJvvvEEES1U_EEEEEEvT0_ ; -- Begin function _ZN4RAJA8internal22HipKernelLauncherFixedILi256ENS0_8LoopDataIN4camp5tupleIJNS_4SpanINS_9Iterators16numeric_iteratorIllPlEElEESA_SA_EEENS4_IJdEEENS3_9resources2v13HipEJZN8rajaperf9polybench14POLYBENCH_GEMM17runHipVariantImplILm256EEEvNSG_9VariantIDEEUlRdE_ZNSJ_ILm256EEEvSK_EUlllE0_ZNSJ_ILm256EEEvSK_EUllllSL_E_ZNSJ_ILm256EEEvSK_EUlllSL_E_EEENS0_24HipStatementListExecutorISQ_NS3_4listIJNS_9statement3ForILl0ENS_6policy3hip11hip_indexerINS_17iteration_mapping6DirectELNS_23kernel_sync_requirementE0EJNS_3hip11IndexGlobalILNS_9named_dimE1ELi8ELi0EEEEEEJNSU_ILl1ENSX_ISZ_LS10_0EJNS12_ILS13_0ELi32ELi0EEEEEEJNST_6LambdaILl0EJNSS_IJNS0_9LambdaArgINS0_18lambda_arg_param_tELl0EEEEEEEEENS18_ILl1EJNSS_IJNS19_INS0_16lambda_arg_seg_tELl0EEENS19_IS1E_Ll1EEEEEEEEENSU_ILl2ENSV_10sequential8seq_execEJNS18_ILl2EJNSS_IJS1F_S1G_NS19_IS1E_Ll2EEEEEES1C_EEEEEENS18_ILl3EJS1H_S1C_EEEEEEEEEEEENS0_9LoopTypesINSS_IJvvvEEES1U_EEEEEEvT0_
	.globl	_ZN4RAJA8internal22HipKernelLauncherFixedILi256ENS0_8LoopDataIN4camp5tupleIJNS_4SpanINS_9Iterators16numeric_iteratorIllPlEElEESA_SA_EEENS4_IJdEEENS3_9resources2v13HipEJZN8rajaperf9polybench14POLYBENCH_GEMM17runHipVariantImplILm256EEEvNSG_9VariantIDEEUlRdE_ZNSJ_ILm256EEEvSK_EUlllE0_ZNSJ_ILm256EEEvSK_EUllllSL_E_ZNSJ_ILm256EEEvSK_EUlllSL_E_EEENS0_24HipStatementListExecutorISQ_NS3_4listIJNS_9statement3ForILl0ENS_6policy3hip11hip_indexerINS_17iteration_mapping6DirectELNS_23kernel_sync_requirementE0EJNS_3hip11IndexGlobalILNS_9named_dimE1ELi8ELi0EEEEEEJNSU_ILl1ENSX_ISZ_LS10_0EJNS12_ILS13_0ELi32ELi0EEEEEEJNST_6LambdaILl0EJNSS_IJNS0_9LambdaArgINS0_18lambda_arg_param_tELl0EEEEEEEEENS18_ILl1EJNSS_IJNS19_INS0_16lambda_arg_seg_tELl0EEENS19_IS1E_Ll1EEEEEEEEENSU_ILl2ENSV_10sequential8seq_execEJNS18_ILl2EJNSS_IJS1F_S1G_NS19_IS1E_Ll2EEEEEES1C_EEEEEENS18_ILl3EJS1H_S1C_EEEEEEEEEEEENS0_9LoopTypesINSS_IJvvvEEES1U_EEEEEEvT0_
	.p2align	8
	.type	_ZN4RAJA8internal22HipKernelLauncherFixedILi256ENS0_8LoopDataIN4camp5tupleIJNS_4SpanINS_9Iterators16numeric_iteratorIllPlEElEESA_SA_EEENS4_IJdEEENS3_9resources2v13HipEJZN8rajaperf9polybench14POLYBENCH_GEMM17runHipVariantImplILm256EEEvNSG_9VariantIDEEUlRdE_ZNSJ_ILm256EEEvSK_EUlllE0_ZNSJ_ILm256EEEvSK_EUllllSL_E_ZNSJ_ILm256EEEvSK_EUlllSL_E_EEENS0_24HipStatementListExecutorISQ_NS3_4listIJNS_9statement3ForILl0ENS_6policy3hip11hip_indexerINS_17iteration_mapping6DirectELNS_23kernel_sync_requirementE0EJNS_3hip11IndexGlobalILNS_9named_dimE1ELi8ELi0EEEEEEJNSU_ILl1ENSX_ISZ_LS10_0EJNS12_ILS13_0ELi32ELi0EEEEEEJNST_6LambdaILl0EJNSS_IJNS0_9LambdaArgINS0_18lambda_arg_param_tELl0EEEEEEEEENS18_ILl1EJNSS_IJNS19_INS0_16lambda_arg_seg_tELl0EEENS19_IS1E_Ll1EEEEEEEEENSU_ILl2ENSV_10sequential8seq_execEJNS18_ILl2EJNSS_IJS1F_S1G_NS19_IS1E_Ll2EEEEEES1C_EEEEEENS18_ILl3EJS1H_S1C_EEEEEEEEEEEENS0_9LoopTypesINSS_IJvvvEEES1U_EEEEEEvT0_,@function
_ZN4RAJA8internal22HipKernelLauncherFixedILi256ENS0_8LoopDataIN4camp5tupleIJNS_4SpanINS_9Iterators16numeric_iteratorIllPlEElEESA_SA_EEENS4_IJdEEENS3_9resources2v13HipEJZN8rajaperf9polybench14POLYBENCH_GEMM17runHipVariantImplILm256EEEvNSG_9VariantIDEEUlRdE_ZNSJ_ILm256EEEvSK_EUlllE0_ZNSJ_ILm256EEEvSK_EUllllSL_E_ZNSJ_ILm256EEEvSK_EUlllSL_E_EEENS0_24HipStatementListExecutorISQ_NS3_4listIJNS_9statement3ForILl0ENS_6policy3hip11hip_indexerINS_17iteration_mapping6DirectELNS_23kernel_sync_requirementE0EJNS_3hip11IndexGlobalILNS_9named_dimE1ELi8ELi0EEEEEEJNSU_ILl1ENSX_ISZ_LS10_0EJNS12_ILS13_0ELi32ELi0EEEEEEJNST_6LambdaILl0EJNSS_IJNS0_9LambdaArgINS0_18lambda_arg_param_tELl0EEEEEEEEENS18_ILl1EJNSS_IJNS19_INS0_16lambda_arg_seg_tELl0EEENS19_IS1E_Ll1EEEEEEEEENSU_ILl2ENSV_10sequential8seq_execEJNS18_ILl2EJNSS_IJS1F_S1G_NS19_IS1E_Ll2EEEEEES1C_EEEEEENS18_ILl3EJS1H_S1C_EEEEEEEEEEEENS0_9LoopTypesINSS_IJvvvEEES1U_EEEEEEvT0_: ; @_ZN4RAJA8internal22HipKernelLauncherFixedILi256ENS0_8LoopDataIN4camp5tupleIJNS_4SpanINS_9Iterators16numeric_iteratorIllPlEElEESA_SA_EEENS4_IJdEEENS3_9resources2v13HipEJZN8rajaperf9polybench14POLYBENCH_GEMM17runHipVariantImplILm256EEEvNSG_9VariantIDEEUlRdE_ZNSJ_ILm256EEEvSK_EUlllE0_ZNSJ_ILm256EEEvSK_EUllllSL_E_ZNSJ_ILm256EEEvSK_EUlllSL_E_EEENS0_24HipStatementListExecutorISQ_NS3_4listIJNS_9statement3ForILl0ENS_6policy3hip11hip_indexerINS_17iteration_mapping6DirectELNS_23kernel_sync_requirementE0EJNS_3hip11IndexGlobalILNS_9named_dimE1ELi8ELi0EEEEEEJNSU_ILl1ENSX_ISZ_LS10_0EJNS12_ILS13_0ELi32ELi0EEEEEEJNST_6LambdaILl0EJNSS_IJNS0_9LambdaArgINS0_18lambda_arg_param_tELl0EEEEEEEEENS18_ILl1EJNSS_IJNS19_INS0_16lambda_arg_seg_tELl0EEENS19_IS1E_Ll1EEEEEEEEENSU_ILl2ENSV_10sequential8seq_execEJNS18_ILl2EJNSS_IJS1F_S1G_NS19_IS1E_Ll2EEEEEES1C_EEEEEENS18_ILl3EJS1H_S1C_EEEEEEEEEEEENS0_9LoopTypesINSS_IJvvvEEES1U_EEEEEEvT0_
; %bb.0:
	s_load_dwordx8 s[8:15], s[4:5], 0x0
	s_load_dwordx4 s[16:19], s[4:5], 0x20
	s_load_dwordx2 s[20:21], s[4:5], 0x30
	s_mov_b32 s0, s7
	s_mov_b32 s1, 0
	s_waitcnt lgkmcnt(0)
	s_sub_u32 s2, s10, s8
	s_subb_u32 s3, s11, s9
	s_lshl_b64 s[10:11], s[0:1], 3
	v_mov_b32_e32 v2, s11
	v_add_co_u32_e32 v1, vcc, s10, v1
	v_addc_co_u32_e32 v2, vcc, 0, v2, vcc
	v_cmp_gt_i64_e32 vcc, s[2:3], v[1:2]
	s_sub_u32 s2, s14, s12
	s_mov_b32 s7, s1
	s_subb_u32 s3, s15, s13
	s_lshl_b64 s[0:1], s[6:7], 5
	v_mov_b32_e32 v4, s1
	v_add_co_u32_e64 v3, s[0:1], s0, v0
	v_addc_co_u32_e64 v4, s[0:1], 0, v4, s[0:1]
	v_cmp_gt_i64_e64 s[0:1], s[2:3], v[3:4]
	v_mov_b32_e32 v5, s20
	s_and_b64 s[2:3], vcc, s[0:1]
	v_mov_b32_e32 v6, s21
	s_and_saveexec_b64 s[0:1], s[2:3]
	s_cbranch_execz .LBB2_2
; %bb.1:
	s_load_dwordx2 s[10:11], s[4:5], 0x60
	v_mov_b32_e32 v5, s9
	v_add_co_u32_e32 v6, vcc, s8, v1
	v_addc_co_u32_e32 v5, vcc, v5, v2, vcc
	s_waitcnt lgkmcnt(0)
	v_mul_lo_u32 v7, s11, v6
	v_mul_lo_u32 v8, s10, v5
	v_mad_u64_u32 v[5:6], s[10:11], s10, v6, 0
	s_load_dwordx2 s[10:11], s[4:5], 0x48
	v_add3_u32 v6, v6, v8, v7
	v_lshlrev_b64 v[7:8], 3, v[3:4]
	v_lshlrev_b64 v[5:6], 3, v[5:6]
	s_waitcnt lgkmcnt(0)
	v_mov_b32_e32 v9, s11
	v_add_co_u32_e32 v7, vcc, s10, v7
	v_addc_co_u32_e32 v8, vcc, v9, v8, vcc
	s_lshl_b64 s[10:11], s[12:13], 3
	v_mov_b32_e32 v9, s11
	v_add_co_u32_e32 v7, vcc, s10, v7
	v_addc_co_u32_e32 v8, vcc, v8, v9, vcc
	v_add_co_u32_e32 v7, vcc, v7, v5
	v_addc_co_u32_e32 v8, vcc, v8, v6, vcc
	global_load_dwordx2 v[5:6], v[7:8], off
	s_load_dwordx2 s[10:11], s[4:5], 0x90
	s_waitcnt vmcnt(0) lgkmcnt(0)
	v_mul_f64 v[9:10], s[10:11], v[5:6]
	v_mov_b32_e32 v5, 0
	v_mov_b32_e32 v6, 0
	global_store_dwordx2 v[7:8], v[9:10], off
.LBB2_2:
	s_or_b64 exec, exec, s[0:1]
	s_load_dwordx2 s[10:11], s[4:5], 0x130
	s_load_dwordx2 s[14:15], s[4:5], 0x148
	s_sub_u32 s18, s18, s16
	s_subb_u32 s19, s19, s17
	v_cmp_lt_i64_e64 s[0:1], s[18:19], 1
	s_and_b64 vcc, exec, s[0:1]
	s_cbranch_vccnz .LBB2_7
; %bb.3:
	s_load_dwordx2 s[0:1], s[4:5], 0xb8
	s_load_dwordx4 s[20:23], s[4:5], 0x98
	v_mov_b32_e32 v7, s9
	v_add_co_u32_e32 v8, vcc, s8, v1
	v_addc_co_u32_e32 v7, vcc, v7, v2, vcc
	s_waitcnt lgkmcnt(0)
	v_mul_lo_u32 v9, s1, v8
	v_mul_lo_u32 v10, s0, v7
	v_mad_u64_u32 v[7:8], s[0:1], s0, v8, 0
	s_load_dwordx2 s[0:1], s[4:5], 0xe8
	s_load_dwordx2 s[24:25], s[4:5], 0x100
	s_lshl_b64 s[4:5], s[16:17], 3
	v_add3_u32 v8, v8, v10, v9
	v_lshlrev_b64 v[7:8], 3, v[7:8]
	s_add_u32 s4, s22, s4
	s_addc_u32 s5, s23, s5
	v_mov_b32_e32 v9, s5
	v_add_co_u32_e32 v7, vcc, s4, v7
	s_waitcnt lgkmcnt(0)
	s_mul_i32 s4, s16, s25
	s_mul_hi_u32 s5, s16, s24
	s_add_i32 s4, s5, s4
	s_mul_i32 s5, s17, s24
	s_add_i32 s5, s4, s5
	s_mul_i32 s4, s16, s24
	s_lshl_b64 s[4:5], s[4:5], 3
	s_lshl_b64 s[6:7], s[6:7], 8
	s_add_u32 s6, s4, s6
	s_addc_u32 s7, s5, s7
	s_lshl_b64 s[4:5], s[12:13], 3
	s_add_u32 s4, s6, s4
	s_addc_u32 s5, s7, s5
	s_add_u32 s0, s0, s4
	v_addc_co_u32_e32 v8, vcc, v9, v8, vcc
	v_lshlrev_b32_e32 v0, 3, v0
	s_addc_u32 s1, s1, s5
	v_mov_b32_e32 v10, s1
	v_add_co_u32_e32 v9, vcc, s0, v0
	v_addc_co_u32_e32 v10, vcc, 0, v10, vcc
	s_lshl_b64 s[4:5], s[24:25], 3
	s_mov_b64 s[6:7], 0
	s_branch .LBB2_5
.LBB2_4:                                ;   in Loop: Header=BB2_5 Depth=1
	s_or_b64 exec, exec, s[0:1]
	s_add_u32 s6, s6, 1
	v_add_co_u32_e32 v7, vcc, 8, v7
	v_mov_b32_e32 v11, s18
	s_addc_u32 s7, s7, 0
	v_addc_co_u32_e32 v8, vcc, 0, v8, vcc
	v_mov_b32_e32 v12, s19
	v_cmp_lt_i64_e32 vcc, s[6:7], v[11:12]
	v_mov_b32_e32 v0, s5
	v_add_co_u32_e64 v9, s[0:1], s4, v9
	v_addc_co_u32_e64 v10, s[0:1], v10, v0, s[0:1]
	s_cbranch_vccz .LBB2_7
.LBB2_5:                                ; =>This Inner Loop Header: Depth=1
	s_and_saveexec_b64 s[0:1], s[2:3]
	s_cbranch_execz .LBB2_4
; %bb.6:                                ;   in Loop: Header=BB2_5 Depth=1
	global_load_dwordx2 v[11:12], v[7:8], off
	global_load_dwordx2 v[13:14], v[9:10], off
	s_waitcnt vmcnt(1)
	v_mul_f64 v[11:12], s[20:21], v[11:12]
	s_waitcnt vmcnt(0)
	v_fma_f64 v[5:6], v[11:12], v[13:14], v[5:6]
	s_branch .LBB2_4
.LBB2_7:
	s_and_saveexec_b64 s[0:1], s[2:3]
	s_cbranch_execz .LBB2_9
; %bb.8:
	v_mov_b32_e32 v0, s9
	v_add_co_u32_e32 v1, vcc, s8, v1
	v_addc_co_u32_e32 v0, vcc, v0, v2, vcc
	s_waitcnt lgkmcnt(0)
	v_mul_lo_u32 v2, s15, v1
	v_mul_lo_u32 v7, s14, v0
	v_mad_u64_u32 v[0:1], s[0:1], s14, v1, 0
	s_lshl_b64 s[0:1], s[12:13], 3
	v_add3_u32 v1, v1, v7, v2
	v_lshlrev_b64 v[2:3], 3, v[3:4]
	v_mov_b32_e32 v4, s11
	v_add_co_u32_e32 v2, vcc, s10, v2
	v_addc_co_u32_e32 v3, vcc, v4, v3, vcc
	v_mov_b32_e32 v4, s1
	v_add_co_u32_e32 v2, vcc, s0, v2
	v_lshlrev_b64 v[0:1], 3, v[0:1]
	v_addc_co_u32_e32 v3, vcc, v3, v4, vcc
	v_add_co_u32_e32 v0, vcc, v2, v0
	v_addc_co_u32_e32 v1, vcc, v3, v1, vcc
	global_store_dwordx2 v[0:1], v[5:6], off
.LBB2_9:
	s_endpgm
	.section	.rodata,"a",@progbits
	.p2align	6, 0x0
	.amdhsa_kernel _ZN4RAJA8internal22HipKernelLauncherFixedILi256ENS0_8LoopDataIN4camp5tupleIJNS_4SpanINS_9Iterators16numeric_iteratorIllPlEElEESA_SA_EEENS4_IJdEEENS3_9resources2v13HipEJZN8rajaperf9polybench14POLYBENCH_GEMM17runHipVariantImplILm256EEEvNSG_9VariantIDEEUlRdE_ZNSJ_ILm256EEEvSK_EUlllE0_ZNSJ_ILm256EEEvSK_EUllllSL_E_ZNSJ_ILm256EEEvSK_EUlllSL_E_EEENS0_24HipStatementListExecutorISQ_NS3_4listIJNS_9statement3ForILl0ENS_6policy3hip11hip_indexerINS_17iteration_mapping6DirectELNS_23kernel_sync_requirementE0EJNS_3hip11IndexGlobalILNS_9named_dimE1ELi8ELi0EEEEEEJNSU_ILl1ENSX_ISZ_LS10_0EJNS12_ILS13_0ELi32ELi0EEEEEEJNST_6LambdaILl0EJNSS_IJNS0_9LambdaArgINS0_18lambda_arg_param_tELl0EEEEEEEEENS18_ILl1EJNSS_IJNS19_INS0_16lambda_arg_seg_tELl0EEENS19_IS1E_Ll1EEEEEEEEENSU_ILl2ENSV_10sequential8seq_execEJNS18_ILl2EJNSS_IJS1F_S1G_NS19_IS1E_Ll2EEEEEES1C_EEEEEENS18_ILl3EJS1H_S1C_EEEEEEEEEEEENS0_9LoopTypesINSS_IJvvvEEES1U_EEEEEEvT0_
		.amdhsa_group_segment_fixed_size 0
		.amdhsa_private_segment_fixed_size 0
		.amdhsa_kernarg_size 416
		.amdhsa_user_sgpr_count 6
		.amdhsa_user_sgpr_private_segment_buffer 1
		.amdhsa_user_sgpr_dispatch_ptr 0
		.amdhsa_user_sgpr_queue_ptr 0
		.amdhsa_user_sgpr_kernarg_segment_ptr 1
		.amdhsa_user_sgpr_dispatch_id 0
		.amdhsa_user_sgpr_flat_scratch_init 0
		.amdhsa_user_sgpr_private_segment_size 0
		.amdhsa_uses_dynamic_stack 0
		.amdhsa_system_sgpr_private_segment_wavefront_offset 0
		.amdhsa_system_sgpr_workgroup_id_x 1
		.amdhsa_system_sgpr_workgroup_id_y 1
		.amdhsa_system_sgpr_workgroup_id_z 0
		.amdhsa_system_sgpr_workgroup_info 0
		.amdhsa_system_vgpr_workitem_id 1
		.amdhsa_next_free_vgpr 15
		.amdhsa_next_free_sgpr 26
		.amdhsa_reserve_vcc 1
		.amdhsa_reserve_flat_scratch 0
		.amdhsa_float_round_mode_32 0
		.amdhsa_float_round_mode_16_64 0
		.amdhsa_float_denorm_mode_32 3
		.amdhsa_float_denorm_mode_16_64 3
		.amdhsa_dx10_clamp 1
		.amdhsa_ieee_mode 1
		.amdhsa_fp16_overflow 0
		.amdhsa_exception_fp_ieee_invalid_op 0
		.amdhsa_exception_fp_denorm_src 0
		.amdhsa_exception_fp_ieee_div_zero 0
		.amdhsa_exception_fp_ieee_overflow 0
		.amdhsa_exception_fp_ieee_underflow 0
		.amdhsa_exception_fp_ieee_inexact 0
		.amdhsa_exception_int_div_zero 0
	.end_amdhsa_kernel
	.section	.text._ZN4RAJA8internal22HipKernelLauncherFixedILi256ENS0_8LoopDataIN4camp5tupleIJNS_4SpanINS_9Iterators16numeric_iteratorIllPlEElEESA_SA_EEENS4_IJdEEENS3_9resources2v13HipEJZN8rajaperf9polybench14POLYBENCH_GEMM17runHipVariantImplILm256EEEvNSG_9VariantIDEEUlRdE_ZNSJ_ILm256EEEvSK_EUlllE0_ZNSJ_ILm256EEEvSK_EUllllSL_E_ZNSJ_ILm256EEEvSK_EUlllSL_E_EEENS0_24HipStatementListExecutorISQ_NS3_4listIJNS_9statement3ForILl0ENS_6policy3hip11hip_indexerINS_17iteration_mapping6DirectELNS_23kernel_sync_requirementE0EJNS_3hip11IndexGlobalILNS_9named_dimE1ELi8ELi0EEEEEEJNSU_ILl1ENSX_ISZ_LS10_0EJNS12_ILS13_0ELi32ELi0EEEEEEJNST_6LambdaILl0EJNSS_IJNS0_9LambdaArgINS0_18lambda_arg_param_tELl0EEEEEEEEENS18_ILl1EJNSS_IJNS19_INS0_16lambda_arg_seg_tELl0EEENS19_IS1E_Ll1EEEEEEEEENSU_ILl2ENSV_10sequential8seq_execEJNS18_ILl2EJNSS_IJS1F_S1G_NS19_IS1E_Ll2EEEEEES1C_EEEEEENS18_ILl3EJS1H_S1C_EEEEEEEEEEEENS0_9LoopTypesINSS_IJvvvEEES1U_EEEEEEvT0_,"axG",@progbits,_ZN4RAJA8internal22HipKernelLauncherFixedILi256ENS0_8LoopDataIN4camp5tupleIJNS_4SpanINS_9Iterators16numeric_iteratorIllPlEElEESA_SA_EEENS4_IJdEEENS3_9resources2v13HipEJZN8rajaperf9polybench14POLYBENCH_GEMM17runHipVariantImplILm256EEEvNSG_9VariantIDEEUlRdE_ZNSJ_ILm256EEEvSK_EUlllE0_ZNSJ_ILm256EEEvSK_EUllllSL_E_ZNSJ_ILm256EEEvSK_EUlllSL_E_EEENS0_24HipStatementListExecutorISQ_NS3_4listIJNS_9statement3ForILl0ENS_6policy3hip11hip_indexerINS_17iteration_mapping6DirectELNS_23kernel_sync_requirementE0EJNS_3hip11IndexGlobalILNS_9named_dimE1ELi8ELi0EEEEEEJNSU_ILl1ENSX_ISZ_LS10_0EJNS12_ILS13_0ELi32ELi0EEEEEEJNST_6LambdaILl0EJNSS_IJNS0_9LambdaArgINS0_18lambda_arg_param_tELl0EEEEEEEEENS18_ILl1EJNSS_IJNS19_INS0_16lambda_arg_seg_tELl0EEENS19_IS1E_Ll1EEEEEEEEENSU_ILl2ENSV_10sequential8seq_execEJNS18_ILl2EJNSS_IJS1F_S1G_NS19_IS1E_Ll2EEEEEES1C_EEEEEENS18_ILl3EJS1H_S1C_EEEEEEEEEEEENS0_9LoopTypesINSS_IJvvvEEES1U_EEEEEEvT0_,comdat
.Lfunc_end2:
	.size	_ZN4RAJA8internal22HipKernelLauncherFixedILi256ENS0_8LoopDataIN4camp5tupleIJNS_4SpanINS_9Iterators16numeric_iteratorIllPlEElEESA_SA_EEENS4_IJdEEENS3_9resources2v13HipEJZN8rajaperf9polybench14POLYBENCH_GEMM17runHipVariantImplILm256EEEvNSG_9VariantIDEEUlRdE_ZNSJ_ILm256EEEvSK_EUlllE0_ZNSJ_ILm256EEEvSK_EUllllSL_E_ZNSJ_ILm256EEEvSK_EUlllSL_E_EEENS0_24HipStatementListExecutorISQ_NS3_4listIJNS_9statement3ForILl0ENS_6policy3hip11hip_indexerINS_17iteration_mapping6DirectELNS_23kernel_sync_requirementE0EJNS_3hip11IndexGlobalILNS_9named_dimE1ELi8ELi0EEEEEEJNSU_ILl1ENSX_ISZ_LS10_0EJNS12_ILS13_0ELi32ELi0EEEEEEJNST_6LambdaILl0EJNSS_IJNS0_9LambdaArgINS0_18lambda_arg_param_tELl0EEEEEEEEENS18_ILl1EJNSS_IJNS19_INS0_16lambda_arg_seg_tELl0EEENS19_IS1E_Ll1EEEEEEEEENSU_ILl2ENSV_10sequential8seq_execEJNS18_ILl2EJNSS_IJS1F_S1G_NS19_IS1E_Ll2EEEEEES1C_EEEEEENS18_ILl3EJS1H_S1C_EEEEEEEEEEEENS0_9LoopTypesINSS_IJvvvEEES1U_EEEEEEvT0_, .Lfunc_end2-_ZN4RAJA8internal22HipKernelLauncherFixedILi256ENS0_8LoopDataIN4camp5tupleIJNS_4SpanINS_9Iterators16numeric_iteratorIllPlEElEESA_SA_EEENS4_IJdEEENS3_9resources2v13HipEJZN8rajaperf9polybench14POLYBENCH_GEMM17runHipVariantImplILm256EEEvNSG_9VariantIDEEUlRdE_ZNSJ_ILm256EEEvSK_EUlllE0_ZNSJ_ILm256EEEvSK_EUllllSL_E_ZNSJ_ILm256EEEvSK_EUlllSL_E_EEENS0_24HipStatementListExecutorISQ_NS3_4listIJNS_9statement3ForILl0ENS_6policy3hip11hip_indexerINS_17iteration_mapping6DirectELNS_23kernel_sync_requirementE0EJNS_3hip11IndexGlobalILNS_9named_dimE1ELi8ELi0EEEEEEJNSU_ILl1ENSX_ISZ_LS10_0EJNS12_ILS13_0ELi32ELi0EEEEEEJNST_6LambdaILl0EJNSS_IJNS0_9LambdaArgINS0_18lambda_arg_param_tELl0EEEEEEEEENS18_ILl1EJNSS_IJNS19_INS0_16lambda_arg_seg_tELl0EEENS19_IS1E_Ll1EEEEEEEEENSU_ILl2ENSV_10sequential8seq_execEJNS18_ILl2EJNSS_IJS1F_S1G_NS19_IS1E_Ll2EEEEEES1C_EEEEEENS18_ILl3EJS1H_S1C_EEEEEEEEEEEENS0_9LoopTypesINSS_IJvvvEEES1U_EEEEEEvT0_
                                        ; -- End function
	.set _ZN4RAJA8internal22HipKernelLauncherFixedILi256ENS0_8LoopDataIN4camp5tupleIJNS_4SpanINS_9Iterators16numeric_iteratorIllPlEElEESA_SA_EEENS4_IJdEEENS3_9resources2v13HipEJZN8rajaperf9polybench14POLYBENCH_GEMM17runHipVariantImplILm256EEEvNSG_9VariantIDEEUlRdE_ZNSJ_ILm256EEEvSK_EUlllE0_ZNSJ_ILm256EEEvSK_EUllllSL_E_ZNSJ_ILm256EEEvSK_EUlllSL_E_EEENS0_24HipStatementListExecutorISQ_NS3_4listIJNS_9statement3ForILl0ENS_6policy3hip11hip_indexerINS_17iteration_mapping6DirectELNS_23kernel_sync_requirementE0EJNS_3hip11IndexGlobalILNS_9named_dimE1ELi8ELi0EEEEEEJNSU_ILl1ENSX_ISZ_LS10_0EJNS12_ILS13_0ELi32ELi0EEEEEEJNST_6LambdaILl0EJNSS_IJNS0_9LambdaArgINS0_18lambda_arg_param_tELl0EEEEEEEEENS18_ILl1EJNSS_IJNS19_INS0_16lambda_arg_seg_tELl0EEENS19_IS1E_Ll1EEEEEEEEENSU_ILl2ENSV_10sequential8seq_execEJNS18_ILl2EJNSS_IJS1F_S1G_NS19_IS1E_Ll2EEEEEES1C_EEEEEENS18_ILl3EJS1H_S1C_EEEEEEEEEEEENS0_9LoopTypesINSS_IJvvvEEES1U_EEEEEEvT0_.num_vgpr, 15
	.set _ZN4RAJA8internal22HipKernelLauncherFixedILi256ENS0_8LoopDataIN4camp5tupleIJNS_4SpanINS_9Iterators16numeric_iteratorIllPlEElEESA_SA_EEENS4_IJdEEENS3_9resources2v13HipEJZN8rajaperf9polybench14POLYBENCH_GEMM17runHipVariantImplILm256EEEvNSG_9VariantIDEEUlRdE_ZNSJ_ILm256EEEvSK_EUlllE0_ZNSJ_ILm256EEEvSK_EUllllSL_E_ZNSJ_ILm256EEEvSK_EUlllSL_E_EEENS0_24HipStatementListExecutorISQ_NS3_4listIJNS_9statement3ForILl0ENS_6policy3hip11hip_indexerINS_17iteration_mapping6DirectELNS_23kernel_sync_requirementE0EJNS_3hip11IndexGlobalILNS_9named_dimE1ELi8ELi0EEEEEEJNSU_ILl1ENSX_ISZ_LS10_0EJNS12_ILS13_0ELi32ELi0EEEEEEJNST_6LambdaILl0EJNSS_IJNS0_9LambdaArgINS0_18lambda_arg_param_tELl0EEEEEEEEENS18_ILl1EJNSS_IJNS19_INS0_16lambda_arg_seg_tELl0EEENS19_IS1E_Ll1EEEEEEEEENSU_ILl2ENSV_10sequential8seq_execEJNS18_ILl2EJNSS_IJS1F_S1G_NS19_IS1E_Ll2EEEEEES1C_EEEEEENS18_ILl3EJS1H_S1C_EEEEEEEEEEEENS0_9LoopTypesINSS_IJvvvEEES1U_EEEEEEvT0_.num_agpr, 0
	.set _ZN4RAJA8internal22HipKernelLauncherFixedILi256ENS0_8LoopDataIN4camp5tupleIJNS_4SpanINS_9Iterators16numeric_iteratorIllPlEElEESA_SA_EEENS4_IJdEEENS3_9resources2v13HipEJZN8rajaperf9polybench14POLYBENCH_GEMM17runHipVariantImplILm256EEEvNSG_9VariantIDEEUlRdE_ZNSJ_ILm256EEEvSK_EUlllE0_ZNSJ_ILm256EEEvSK_EUllllSL_E_ZNSJ_ILm256EEEvSK_EUlllSL_E_EEENS0_24HipStatementListExecutorISQ_NS3_4listIJNS_9statement3ForILl0ENS_6policy3hip11hip_indexerINS_17iteration_mapping6DirectELNS_23kernel_sync_requirementE0EJNS_3hip11IndexGlobalILNS_9named_dimE1ELi8ELi0EEEEEEJNSU_ILl1ENSX_ISZ_LS10_0EJNS12_ILS13_0ELi32ELi0EEEEEEJNST_6LambdaILl0EJNSS_IJNS0_9LambdaArgINS0_18lambda_arg_param_tELl0EEEEEEEEENS18_ILl1EJNSS_IJNS19_INS0_16lambda_arg_seg_tELl0EEENS19_IS1E_Ll1EEEEEEEEENSU_ILl2ENSV_10sequential8seq_execEJNS18_ILl2EJNSS_IJS1F_S1G_NS19_IS1E_Ll2EEEEEES1C_EEEEEENS18_ILl3EJS1H_S1C_EEEEEEEEEEEENS0_9LoopTypesINSS_IJvvvEEES1U_EEEEEEvT0_.numbered_sgpr, 26
	.set _ZN4RAJA8internal22HipKernelLauncherFixedILi256ENS0_8LoopDataIN4camp5tupleIJNS_4SpanINS_9Iterators16numeric_iteratorIllPlEElEESA_SA_EEENS4_IJdEEENS3_9resources2v13HipEJZN8rajaperf9polybench14POLYBENCH_GEMM17runHipVariantImplILm256EEEvNSG_9VariantIDEEUlRdE_ZNSJ_ILm256EEEvSK_EUlllE0_ZNSJ_ILm256EEEvSK_EUllllSL_E_ZNSJ_ILm256EEEvSK_EUlllSL_E_EEENS0_24HipStatementListExecutorISQ_NS3_4listIJNS_9statement3ForILl0ENS_6policy3hip11hip_indexerINS_17iteration_mapping6DirectELNS_23kernel_sync_requirementE0EJNS_3hip11IndexGlobalILNS_9named_dimE1ELi8ELi0EEEEEEJNSU_ILl1ENSX_ISZ_LS10_0EJNS12_ILS13_0ELi32ELi0EEEEEEJNST_6LambdaILl0EJNSS_IJNS0_9LambdaArgINS0_18lambda_arg_param_tELl0EEEEEEEEENS18_ILl1EJNSS_IJNS19_INS0_16lambda_arg_seg_tELl0EEENS19_IS1E_Ll1EEEEEEEEENSU_ILl2ENSV_10sequential8seq_execEJNS18_ILl2EJNSS_IJS1F_S1G_NS19_IS1E_Ll2EEEEEES1C_EEEEEENS18_ILl3EJS1H_S1C_EEEEEEEEEEEENS0_9LoopTypesINSS_IJvvvEEES1U_EEEEEEvT0_.num_named_barrier, 0
	.set _ZN4RAJA8internal22HipKernelLauncherFixedILi256ENS0_8LoopDataIN4camp5tupleIJNS_4SpanINS_9Iterators16numeric_iteratorIllPlEElEESA_SA_EEENS4_IJdEEENS3_9resources2v13HipEJZN8rajaperf9polybench14POLYBENCH_GEMM17runHipVariantImplILm256EEEvNSG_9VariantIDEEUlRdE_ZNSJ_ILm256EEEvSK_EUlllE0_ZNSJ_ILm256EEEvSK_EUllllSL_E_ZNSJ_ILm256EEEvSK_EUlllSL_E_EEENS0_24HipStatementListExecutorISQ_NS3_4listIJNS_9statement3ForILl0ENS_6policy3hip11hip_indexerINS_17iteration_mapping6DirectELNS_23kernel_sync_requirementE0EJNS_3hip11IndexGlobalILNS_9named_dimE1ELi8ELi0EEEEEEJNSU_ILl1ENSX_ISZ_LS10_0EJNS12_ILS13_0ELi32ELi0EEEEEEJNST_6LambdaILl0EJNSS_IJNS0_9LambdaArgINS0_18lambda_arg_param_tELl0EEEEEEEEENS18_ILl1EJNSS_IJNS19_INS0_16lambda_arg_seg_tELl0EEENS19_IS1E_Ll1EEEEEEEEENSU_ILl2ENSV_10sequential8seq_execEJNS18_ILl2EJNSS_IJS1F_S1G_NS19_IS1E_Ll2EEEEEES1C_EEEEEENS18_ILl3EJS1H_S1C_EEEEEEEEEEEENS0_9LoopTypesINSS_IJvvvEEES1U_EEEEEEvT0_.private_seg_size, 0
	.set _ZN4RAJA8internal22HipKernelLauncherFixedILi256ENS0_8LoopDataIN4camp5tupleIJNS_4SpanINS_9Iterators16numeric_iteratorIllPlEElEESA_SA_EEENS4_IJdEEENS3_9resources2v13HipEJZN8rajaperf9polybench14POLYBENCH_GEMM17runHipVariantImplILm256EEEvNSG_9VariantIDEEUlRdE_ZNSJ_ILm256EEEvSK_EUlllE0_ZNSJ_ILm256EEEvSK_EUllllSL_E_ZNSJ_ILm256EEEvSK_EUlllSL_E_EEENS0_24HipStatementListExecutorISQ_NS3_4listIJNS_9statement3ForILl0ENS_6policy3hip11hip_indexerINS_17iteration_mapping6DirectELNS_23kernel_sync_requirementE0EJNS_3hip11IndexGlobalILNS_9named_dimE1ELi8ELi0EEEEEEJNSU_ILl1ENSX_ISZ_LS10_0EJNS12_ILS13_0ELi32ELi0EEEEEEJNST_6LambdaILl0EJNSS_IJNS0_9LambdaArgINS0_18lambda_arg_param_tELl0EEEEEEEEENS18_ILl1EJNSS_IJNS19_INS0_16lambda_arg_seg_tELl0EEENS19_IS1E_Ll1EEEEEEEEENSU_ILl2ENSV_10sequential8seq_execEJNS18_ILl2EJNSS_IJS1F_S1G_NS19_IS1E_Ll2EEEEEES1C_EEEEEENS18_ILl3EJS1H_S1C_EEEEEEEEEEEENS0_9LoopTypesINSS_IJvvvEEES1U_EEEEEEvT0_.uses_vcc, 1
	.set _ZN4RAJA8internal22HipKernelLauncherFixedILi256ENS0_8LoopDataIN4camp5tupleIJNS_4SpanINS_9Iterators16numeric_iteratorIllPlEElEESA_SA_EEENS4_IJdEEENS3_9resources2v13HipEJZN8rajaperf9polybench14POLYBENCH_GEMM17runHipVariantImplILm256EEEvNSG_9VariantIDEEUlRdE_ZNSJ_ILm256EEEvSK_EUlllE0_ZNSJ_ILm256EEEvSK_EUllllSL_E_ZNSJ_ILm256EEEvSK_EUlllSL_E_EEENS0_24HipStatementListExecutorISQ_NS3_4listIJNS_9statement3ForILl0ENS_6policy3hip11hip_indexerINS_17iteration_mapping6DirectELNS_23kernel_sync_requirementE0EJNS_3hip11IndexGlobalILNS_9named_dimE1ELi8ELi0EEEEEEJNSU_ILl1ENSX_ISZ_LS10_0EJNS12_ILS13_0ELi32ELi0EEEEEEJNST_6LambdaILl0EJNSS_IJNS0_9LambdaArgINS0_18lambda_arg_param_tELl0EEEEEEEEENS18_ILl1EJNSS_IJNS19_INS0_16lambda_arg_seg_tELl0EEENS19_IS1E_Ll1EEEEEEEEENSU_ILl2ENSV_10sequential8seq_execEJNS18_ILl2EJNSS_IJS1F_S1G_NS19_IS1E_Ll2EEEEEES1C_EEEEEENS18_ILl3EJS1H_S1C_EEEEEEEEEEEENS0_9LoopTypesINSS_IJvvvEEES1U_EEEEEEvT0_.uses_flat_scratch, 0
	.set _ZN4RAJA8internal22HipKernelLauncherFixedILi256ENS0_8LoopDataIN4camp5tupleIJNS_4SpanINS_9Iterators16numeric_iteratorIllPlEElEESA_SA_EEENS4_IJdEEENS3_9resources2v13HipEJZN8rajaperf9polybench14POLYBENCH_GEMM17runHipVariantImplILm256EEEvNSG_9VariantIDEEUlRdE_ZNSJ_ILm256EEEvSK_EUlllE0_ZNSJ_ILm256EEEvSK_EUllllSL_E_ZNSJ_ILm256EEEvSK_EUlllSL_E_EEENS0_24HipStatementListExecutorISQ_NS3_4listIJNS_9statement3ForILl0ENS_6policy3hip11hip_indexerINS_17iteration_mapping6DirectELNS_23kernel_sync_requirementE0EJNS_3hip11IndexGlobalILNS_9named_dimE1ELi8ELi0EEEEEEJNSU_ILl1ENSX_ISZ_LS10_0EJNS12_ILS13_0ELi32ELi0EEEEEEJNST_6LambdaILl0EJNSS_IJNS0_9LambdaArgINS0_18lambda_arg_param_tELl0EEEEEEEEENS18_ILl1EJNSS_IJNS19_INS0_16lambda_arg_seg_tELl0EEENS19_IS1E_Ll1EEEEEEEEENSU_ILl2ENSV_10sequential8seq_execEJNS18_ILl2EJNSS_IJS1F_S1G_NS19_IS1E_Ll2EEEEEES1C_EEEEEENS18_ILl3EJS1H_S1C_EEEEEEEEEEEENS0_9LoopTypesINSS_IJvvvEEES1U_EEEEEEvT0_.has_dyn_sized_stack, 0
	.set _ZN4RAJA8internal22HipKernelLauncherFixedILi256ENS0_8LoopDataIN4camp5tupleIJNS_4SpanINS_9Iterators16numeric_iteratorIllPlEElEESA_SA_EEENS4_IJdEEENS3_9resources2v13HipEJZN8rajaperf9polybench14POLYBENCH_GEMM17runHipVariantImplILm256EEEvNSG_9VariantIDEEUlRdE_ZNSJ_ILm256EEEvSK_EUlllE0_ZNSJ_ILm256EEEvSK_EUllllSL_E_ZNSJ_ILm256EEEvSK_EUlllSL_E_EEENS0_24HipStatementListExecutorISQ_NS3_4listIJNS_9statement3ForILl0ENS_6policy3hip11hip_indexerINS_17iteration_mapping6DirectELNS_23kernel_sync_requirementE0EJNS_3hip11IndexGlobalILNS_9named_dimE1ELi8ELi0EEEEEEJNSU_ILl1ENSX_ISZ_LS10_0EJNS12_ILS13_0ELi32ELi0EEEEEEJNST_6LambdaILl0EJNSS_IJNS0_9LambdaArgINS0_18lambda_arg_param_tELl0EEEEEEEEENS18_ILl1EJNSS_IJNS19_INS0_16lambda_arg_seg_tELl0EEENS19_IS1E_Ll1EEEEEEEEENSU_ILl2ENSV_10sequential8seq_execEJNS18_ILl2EJNSS_IJS1F_S1G_NS19_IS1E_Ll2EEEEEES1C_EEEEEENS18_ILl3EJS1H_S1C_EEEEEEEEEEEENS0_9LoopTypesINSS_IJvvvEEES1U_EEEEEEvT0_.has_recursion, 0
	.set _ZN4RAJA8internal22HipKernelLauncherFixedILi256ENS0_8LoopDataIN4camp5tupleIJNS_4SpanINS_9Iterators16numeric_iteratorIllPlEElEESA_SA_EEENS4_IJdEEENS3_9resources2v13HipEJZN8rajaperf9polybench14POLYBENCH_GEMM17runHipVariantImplILm256EEEvNSG_9VariantIDEEUlRdE_ZNSJ_ILm256EEEvSK_EUlllE0_ZNSJ_ILm256EEEvSK_EUllllSL_E_ZNSJ_ILm256EEEvSK_EUlllSL_E_EEENS0_24HipStatementListExecutorISQ_NS3_4listIJNS_9statement3ForILl0ENS_6policy3hip11hip_indexerINS_17iteration_mapping6DirectELNS_23kernel_sync_requirementE0EJNS_3hip11IndexGlobalILNS_9named_dimE1ELi8ELi0EEEEEEJNSU_ILl1ENSX_ISZ_LS10_0EJNS12_ILS13_0ELi32ELi0EEEEEEJNST_6LambdaILl0EJNSS_IJNS0_9LambdaArgINS0_18lambda_arg_param_tELl0EEEEEEEEENS18_ILl1EJNSS_IJNS19_INS0_16lambda_arg_seg_tELl0EEENS19_IS1E_Ll1EEEEEEEEENSU_ILl2ENSV_10sequential8seq_execEJNS18_ILl2EJNSS_IJS1F_S1G_NS19_IS1E_Ll2EEEEEES1C_EEEEEENS18_ILl3EJS1H_S1C_EEEEEEEEEEEENS0_9LoopTypesINSS_IJvvvEEES1U_EEEEEEvT0_.has_indirect_call, 0
	.section	.AMDGPU.csdata,"",@progbits
; Kernel info:
; codeLenInByte = 768
; TotalNumSgprs: 30
; NumVgprs: 15
; ScratchSize: 0
; MemoryBound: 1
; FloatMode: 240
; IeeeMode: 1
; LDSByteSize: 0 bytes/workgroup (compile time only)
; SGPRBlocks: 3
; VGPRBlocks: 3
; NumSGPRsForWavesPerEU: 30
; NumVGPRsForWavesPerEU: 15
; Occupancy: 10
; WaveLimiterHint : 1
; COMPUTE_PGM_RSRC2:SCRATCH_EN: 0
; COMPUTE_PGM_RSRC2:USER_SGPR: 6
; COMPUTE_PGM_RSRC2:TRAP_HANDLER: 0
; COMPUTE_PGM_RSRC2:TGID_X_EN: 1
; COMPUTE_PGM_RSRC2:TGID_Y_EN: 1
; COMPUTE_PGM_RSRC2:TGID_Z_EN: 0
; COMPUTE_PGM_RSRC2:TIDIG_COMP_CNT: 1
	.section	.AMDGPU.gpr_maximums,"",@progbits
	.set amdgpu.max_num_vgpr, 0
	.set amdgpu.max_num_agpr, 0
	.set amdgpu.max_num_sgpr, 0
	.section	.AMDGPU.csdata,"",@progbits
	.type	__hip_cuid_31eed37f0e1a3f35,@object ; @__hip_cuid_31eed37f0e1a3f35
	.section	.bss,"aw",@nobits
	.globl	__hip_cuid_31eed37f0e1a3f35
__hip_cuid_31eed37f0e1a3f35:
	.byte	0                               ; 0x0
	.size	__hip_cuid_31eed37f0e1a3f35, 1

	.ident	"AMD clang version 22.0.0git (https://github.com/RadeonOpenCompute/llvm-project roc-7.2.4 26084 f58b06dce1f9c15707c5f808fd002e18c2accf7e)"
	.section	".note.GNU-stack","",@progbits
	.addrsig
	.addrsig_sym __hip_cuid_31eed37f0e1a3f35
	.amdgpu_metadata
---
amdhsa.kernels:
  - .args:
      - .address_space:  global
        .offset:         0
        .size:           8
        .value_kind:     global_buffer
      - .address_space:  global
        .offset:         8
        .size:           8
        .value_kind:     global_buffer
      - .address_space:  global
        .offset:         16
        .size:           8
        .value_kind:     global_buffer
      - .offset:         24
        .size:           8
        .value_kind:     by_value
      - .offset:         32
        .size:           8
        .value_kind:     by_value
      - .offset:         40
        .size:           8
        .value_kind:     by_value
      - .offset:         48
        .size:           8
        .value_kind:     by_value
      - .offset:         56
        .size:           8
        .value_kind:     by_value
      - .offset:         64
        .size:           4
        .value_kind:     hidden_block_count_x
      - .offset:         68
        .size:           4
        .value_kind:     hidden_block_count_y
      - .offset:         72
        .size:           4
        .value_kind:     hidden_block_count_z
      - .offset:         76
        .size:           2
        .value_kind:     hidden_group_size_x
      - .offset:         78
        .size:           2
        .value_kind:     hidden_group_size_y
      - .offset:         80
        .size:           2
        .value_kind:     hidden_group_size_z
      - .offset:         82
        .size:           2
        .value_kind:     hidden_remainder_x
      - .offset:         84
        .size:           2
        .value_kind:     hidden_remainder_y
      - .offset:         86
        .size:           2
        .value_kind:     hidden_remainder_z
      - .offset:         104
        .size:           8
        .value_kind:     hidden_global_offset_x
      - .offset:         112
        .size:           8
        .value_kind:     hidden_global_offset_y
      - .offset:         120
        .size:           8
        .value_kind:     hidden_global_offset_z
      - .offset:         128
        .size:           2
        .value_kind:     hidden_grid_dims
    .group_segment_fixed_size: 0
    .kernarg_segment_align: 8
    .kernarg_segment_size: 320
    .language:       OpenCL C
    .language_version:
      - 2
      - 0
    .max_flat_workgroup_size: 256
    .name:           _ZN8rajaperf9polybench9poly_gemmILm32ELm8EEEvPdS2_S2_ddlll
    .private_segment_fixed_size: 0
    .sgpr_count:     28
    .sgpr_spill_count: 0
    .symbol:         _ZN8rajaperf9polybench9poly_gemmILm32ELm8EEEvPdS2_S2_ddlll.kd
    .uniform_work_group_size: 1
    .uses_dynamic_stack: false
    .vgpr_count:     12
    .vgpr_spill_count: 0
    .wavefront_size: 64
  - .args:
      - .offset:         0
        .size:           8
        .value_kind:     by_value
      - .offset:         8
        .size:           8
        .value_kind:     by_value
      - .offset:         16
        .size:           56
        .value_kind:     by_value
      - .offset:         72
        .size:           4
        .value_kind:     hidden_block_count_x
      - .offset:         76
        .size:           4
        .value_kind:     hidden_block_count_y
      - .offset:         80
        .size:           4
        .value_kind:     hidden_block_count_z
      - .offset:         84
        .size:           2
        .value_kind:     hidden_group_size_x
      - .offset:         86
        .size:           2
        .value_kind:     hidden_group_size_y
      - .offset:         88
        .size:           2
        .value_kind:     hidden_group_size_z
      - .offset:         90
        .size:           2
        .value_kind:     hidden_remainder_x
      - .offset:         92
        .size:           2
        .value_kind:     hidden_remainder_y
      - .offset:         94
        .size:           2
        .value_kind:     hidden_remainder_z
      - .offset:         112
        .size:           8
        .value_kind:     hidden_global_offset_x
      - .offset:         120
        .size:           8
        .value_kind:     hidden_global_offset_y
      - .offset:         128
        .size:           8
        .value_kind:     hidden_global_offset_z
      - .offset:         136
        .size:           2
        .value_kind:     hidden_grid_dims
    .group_segment_fixed_size: 0
    .kernarg_segment_align: 8
    .kernarg_segment_size: 328
    .language:       OpenCL C
    .language_version:
      - 2
      - 0
    .max_flat_workgroup_size: 256
    .name:           _ZN8rajaperf9polybench13poly_gemm_lamILm32ELm8EZNS0_14POLYBENCH_GEMM17runHipVariantImplILm256EEEvNS_9VariantIDEEUlllE_EEvllT1_
    .private_segment_fixed_size: 0
    .sgpr_count:     20
    .sgpr_spill_count: 0
    .symbol:         _ZN8rajaperf9polybench13poly_gemm_lamILm32ELm8EZNS0_14POLYBENCH_GEMM17runHipVariantImplILm256EEEvNS_9VariantIDEEUlllE_EEvllT1_.kd
    .uniform_work_group_size: 1
    .uses_dynamic_stack: false
    .vgpr_count:     12
    .vgpr_spill_count: 0
    .wavefront_size: 64
  - .args:
      - .offset:         0
        .size:           416
        .value_kind:     by_value
    .group_segment_fixed_size: 0
    .kernarg_segment_align: 8
    .kernarg_segment_size: 416
    .language:       OpenCL C
    .language_version:
      - 2
      - 0
    .max_flat_workgroup_size: 256
    .name:           _ZN4RAJA8internal22HipKernelLauncherFixedILi256ENS0_8LoopDataIN4camp5tupleIJNS_4SpanINS_9Iterators16numeric_iteratorIllPlEElEESA_SA_EEENS4_IJdEEENS3_9resources2v13HipEJZN8rajaperf9polybench14POLYBENCH_GEMM17runHipVariantImplILm256EEEvNSG_9VariantIDEEUlRdE_ZNSJ_ILm256EEEvSK_EUlllE0_ZNSJ_ILm256EEEvSK_EUllllSL_E_ZNSJ_ILm256EEEvSK_EUlllSL_E_EEENS0_24HipStatementListExecutorISQ_NS3_4listIJNS_9statement3ForILl0ENS_6policy3hip11hip_indexerINS_17iteration_mapping6DirectELNS_23kernel_sync_requirementE0EJNS_3hip11IndexGlobalILNS_9named_dimE1ELi8ELi0EEEEEEJNSU_ILl1ENSX_ISZ_LS10_0EJNS12_ILS13_0ELi32ELi0EEEEEEJNST_6LambdaILl0EJNSS_IJNS0_9LambdaArgINS0_18lambda_arg_param_tELl0EEEEEEEEENS18_ILl1EJNSS_IJNS19_INS0_16lambda_arg_seg_tELl0EEENS19_IS1E_Ll1EEEEEEEEENSU_ILl2ENSV_10sequential8seq_execEJNS18_ILl2EJNSS_IJS1F_S1G_NS19_IS1E_Ll2EEEEEES1C_EEEEEENS18_ILl3EJS1H_S1C_EEEEEEEEEEEENS0_9LoopTypesINSS_IJvvvEEES1U_EEEEEEvT0_
    .private_segment_fixed_size: 0
    .sgpr_count:     30
    .sgpr_spill_count: 0
    .symbol:         _ZN4RAJA8internal22HipKernelLauncherFixedILi256ENS0_8LoopDataIN4camp5tupleIJNS_4SpanINS_9Iterators16numeric_iteratorIllPlEElEESA_SA_EEENS4_IJdEEENS3_9resources2v13HipEJZN8rajaperf9polybench14POLYBENCH_GEMM17runHipVariantImplILm256EEEvNSG_9VariantIDEEUlRdE_ZNSJ_ILm256EEEvSK_EUlllE0_ZNSJ_ILm256EEEvSK_EUllllSL_E_ZNSJ_ILm256EEEvSK_EUlllSL_E_EEENS0_24HipStatementListExecutorISQ_NS3_4listIJNS_9statement3ForILl0ENS_6policy3hip11hip_indexerINS_17iteration_mapping6DirectELNS_23kernel_sync_requirementE0EJNS_3hip11IndexGlobalILNS_9named_dimE1ELi8ELi0EEEEEEJNSU_ILl1ENSX_ISZ_LS10_0EJNS12_ILS13_0ELi32ELi0EEEEEEJNST_6LambdaILl0EJNSS_IJNS0_9LambdaArgINS0_18lambda_arg_param_tELl0EEEEEEEEENS18_ILl1EJNSS_IJNS19_INS0_16lambda_arg_seg_tELl0EEENS19_IS1E_Ll1EEEEEEEEENSU_ILl2ENSV_10sequential8seq_execEJNS18_ILl2EJNSS_IJS1F_S1G_NS19_IS1E_Ll2EEEEEES1C_EEEEEENS18_ILl3EJS1H_S1C_EEEEEEEEEEEENS0_9LoopTypesINSS_IJvvvEEES1U_EEEEEEvT0_.kd
    .uniform_work_group_size: 1
    .uses_dynamic_stack: false
    .vgpr_count:     15
    .vgpr_spill_count: 0
    .wavefront_size: 64
amdhsa.target:   amdgcn-amd-amdhsa--gfx906
amdhsa.version:
  - 1
  - 2
...

	.end_amdgpu_metadata
